;; amdgpu-corpus repo=ROCm/rocFFT kind=compiled arch=gfx906 opt=O3
	.text
	.amdgcn_target "amdgcn-amd-amdhsa--gfx906"
	.amdhsa_code_object_version 6
	.protected	fft_rtc_back_len100_factors_2_10_5_wgs_200_tpt_10_dim3_dp_ip_CI_sbcc_twdbase8_3step_dirReg ; -- Begin function fft_rtc_back_len100_factors_2_10_5_wgs_200_tpt_10_dim3_dp_ip_CI_sbcc_twdbase8_3step_dirReg
	.globl	fft_rtc_back_len100_factors_2_10_5_wgs_200_tpt_10_dim3_dp_ip_CI_sbcc_twdbase8_3step_dirReg
	.p2align	8
	.type	fft_rtc_back_len100_factors_2_10_5_wgs_200_tpt_10_dim3_dp_ip_CI_sbcc_twdbase8_3step_dirReg,@function
fft_rtc_back_len100_factors_2_10_5_wgs_200_tpt_10_dim3_dp_ip_CI_sbcc_twdbase8_3step_dirReg: ; @fft_rtc_back_len100_factors_2_10_5_wgs_200_tpt_10_dim3_dp_ip_CI_sbcc_twdbase8_3step_dirReg
; %bb.0:
	s_load_dwordx4 s[0:3], s[4:5], 0x10
	s_mov_b32 s7, 0
	s_mov_b64 s[18:19], 0
	s_waitcnt lgkmcnt(0)
	s_load_dwordx2 s[24:25], s[0:1], 0x8
	s_waitcnt lgkmcnt(0)
	s_add_u32 s8, s24, -1
	s_addc_u32 s9, s25, -1
	s_add_u32 s10, 0, 0xcccc3000
	s_addc_u32 s11, 0, 44
	s_mul_hi_u32 s13, s10, 0xffffffec
	s_add_i32 s11, s11, 0xccccca0
	s_sub_i32 s13, s13, s10
	s_mul_i32 s16, s11, 0xffffffec
	s_mul_i32 s12, s10, 0xffffffec
	s_add_i32 s13, s13, s16
	s_mul_hi_u32 s14, s11, s12
	s_mul_i32 s15, s11, s12
	s_mul_i32 s17, s10, s13
	s_mul_hi_u32 s12, s10, s12
	s_mul_hi_u32 s16, s10, s13
	s_add_u32 s12, s12, s17
	s_addc_u32 s16, 0, s16
	s_add_u32 s12, s12, s15
	s_mul_hi_u32 s17, s11, s13
	s_addc_u32 s12, s16, s14
	s_addc_u32 s14, s17, 0
	s_mul_i32 s13, s11, s13
	s_add_u32 s12, s12, s13
	v_mov_b32_e32 v1, s12
	s_addc_u32 s13, 0, s14
	v_add_co_u32_e32 v1, vcc, s10, v1
	s_cmp_lg_u64 vcc, 0
	s_addc_u32 s10, s11, s13
	v_readfirstlane_b32 s13, v1
	s_mul_i32 s12, s8, s10
	s_mul_hi_u32 s14, s8, s13
	s_mul_hi_u32 s11, s8, s10
	s_add_u32 s12, s14, s12
	s_addc_u32 s11, 0, s11
	s_mul_hi_u32 s15, s9, s13
	s_mul_i32 s13, s9, s13
	s_add_u32 s12, s12, s13
	s_mul_hi_u32 s14, s9, s10
	s_addc_u32 s11, s11, s15
	s_addc_u32 s12, s14, 0
	s_mul_i32 s10, s9, s10
	s_add_u32 s10, s11, s10
	s_addc_u32 s11, 0, s12
	s_add_u32 s12, s10, 1
	s_addc_u32 s13, s11, 0
	s_add_u32 s14, s10, 2
	s_mul_i32 s16, s11, 20
	s_mul_hi_u32 s17, s10, 20
	s_addc_u32 s15, s11, 0
	s_add_i32 s17, s17, s16
	s_mul_i32 s16, s10, 20
	v_mov_b32_e32 v1, s16
	v_sub_co_u32_e32 v1, vcc, s8, v1
	s_cmp_lg_u64 vcc, 0
	s_subb_u32 s8, s9, s17
	v_subrev_co_u32_e32 v2, vcc, 20, v1
	s_cmp_lg_u64 vcc, 0
	s_subb_u32 s9, s8, 0
	v_readfirstlane_b32 s16, v2
	s_cmp_gt_u32 s16, 19
	s_cselect_b32 s16, -1, 0
	s_cmp_eq_u32 s9, 0
	s_cselect_b32 s9, s16, -1
	s_cmp_lg_u32 s9, 0
	s_cselect_b32 s9, s14, s12
	s_cselect_b32 s12, s15, s13
	v_readfirstlane_b32 s13, v1
	s_cmp_gt_u32 s13, 19
	s_cselect_b32 s13, -1, 0
	s_cmp_eq_u32 s8, 0
	s_cselect_b32 s8, s13, -1
	s_cmp_lg_u32 s8, 0
	s_cselect_b32 s9, s9, s10
	s_cselect_b32 s8, s12, s11
	s_add_u32 s16, s9, 1
	s_addc_u32 s17, s8, 0
	v_mov_b32_e32 v1, s16
	v_mov_b32_e32 v2, s17
	v_cmp_lt_u64_e32 vcc, s[6:7], v[1:2]
	s_cbranch_vccnz .LBB0_2
; %bb.1:
	v_cvt_f32_u32_e32 v1, s16
	s_sub_i32 s8, 0, s16
	s_mov_b32 s19, s7
	v_rcp_iflag_f32_e32 v1, v1
	v_mul_f32_e32 v1, 0x4f7ffffe, v1
	v_cvt_u32_f32_e32 v1, v1
	v_readfirstlane_b32 s9, v1
	s_mul_i32 s8, s8, s9
	s_mul_hi_u32 s8, s9, s8
	s_add_i32 s9, s9, s8
	s_mul_hi_u32 s8, s6, s9
	s_mul_i32 s10, s8, s16
	s_sub_i32 s10, s6, s10
	s_add_i32 s9, s8, 1
	s_sub_i32 s11, s10, s16
	s_cmp_ge_u32 s10, s16
	s_cselect_b32 s8, s9, s8
	s_cselect_b32 s10, s11, s10
	s_add_i32 s9, s8, 1
	s_cmp_ge_u32 s10, s16
	s_cselect_b32 s18, s9, s8
.LBB0_2:
	s_load_dwordx2 s[8:9], s[0:1], 0x10
	s_load_dwordx2 s[10:11], s[2:3], 0x8
	s_mov_b64 s[0:1], s[18:19]
	s_waitcnt lgkmcnt(0)
	v_mov_b32_e32 v1, s8
	v_mov_b32_e32 v2, s9
	v_cmp_lt_u64_e32 vcc, s[18:19], v[1:2]
	s_cbranch_vccnz .LBB0_4
; %bb.3:
	v_cvt_f32_u32_e32 v1, s8
	s_sub_i32 s0, 0, s8
	v_rcp_iflag_f32_e32 v1, v1
	v_mul_f32_e32 v1, 0x4f7ffffe, v1
	v_cvt_u32_f32_e32 v1, v1
	v_readfirstlane_b32 s1, v1
	s_mul_i32 s0, s0, s1
	s_mul_hi_u32 s0, s1, s0
	s_add_i32 s1, s1, s0
	s_mul_hi_u32 s0, s18, s1
	s_mul_i32 s0, s0, s8
	s_sub_i32 s0, s18, s0
	s_sub_i32 s1, s0, s8
	s_cmp_ge_u32 s0, s8
	s_cselect_b32 s0, s1, s0
	s_sub_i32 s1, s0, s8
	s_cmp_ge_u32 s0, s8
	s_cselect_b32 s0, s1, s0
.LBB0_4:
	s_mul_i32 s1, s8, s17
	s_mul_hi_u32 s14, s8, s16
	s_add_i32 s1, s14, s1
	s_mul_i32 s9, s9, s16
	s_mul_i32 s14, s8, s16
	s_load_dwordx2 s[12:13], s[4:5], 0x50
	s_add_i32 s15, s1, s9
	s_load_dwordx2 s[8:9], s[2:3], 0x0
	s_load_dwordx2 s[20:21], s[2:3], 0x10
	v_mov_b32_e32 v1, s14
	v_mov_b32_e32 v2, s15
	v_cmp_lt_u64_e32 vcc, s[6:7], v[1:2]
	s_mov_b64 s[22:23], 0
	s_cbranch_vccnz .LBB0_6
; %bb.5:
	v_cvt_f32_u32_e32 v1, s14
	s_sub_i32 s1, 0, s14
	v_rcp_iflag_f32_e32 v1, v1
	v_mul_f32_e32 v1, 0x4f7ffffe, v1
	v_cvt_u32_f32_e32 v1, v1
	v_readfirstlane_b32 s7, v1
	s_mul_i32 s1, s1, s7
	s_mul_hi_u32 s1, s7, s1
	s_add_i32 s7, s7, s1
	s_mul_hi_u32 s1, s6, s7
	s_mul_i32 s15, s1, s14
	s_sub_i32 s15, s6, s15
	s_add_i32 s7, s1, 1
	s_sub_i32 s19, s15, s14
	s_cmp_ge_u32 s15, s14
	s_cselect_b32 s1, s7, s1
	s_cselect_b32 s15, s19, s15
	s_add_i32 s7, s1, 1
	s_cmp_ge_u32 s15, s14
	s_cselect_b32 s22, s7, s1
.LBB0_6:
	s_mul_i32 s1, s18, s17
	s_mul_hi_u32 s7, s18, s16
	s_add_i32 s7, s7, s1
	s_mul_i32 s1, s18, s16
	s_sub_u32 s1, s6, s1
	s_subb_u32 s6, 0, s7
	s_mul_i32 s6, s6, 20
	s_mul_hi_u32 s7, s1, 20
	s_load_dwordx2 s[2:3], s[2:3], 0x18
	s_add_i32 s6, s7, s6
	s_mul_i32 s1, s1, 20
	s_mul_i32 s7, s10, s6
	s_mul_hi_u32 s16, s10, s1
	s_add_i32 s7, s16, s7
	s_mul_i32 s16, s11, s1
	s_waitcnt lgkmcnt(0)
	s_mul_i32 s17, s21, s0
	s_mul_hi_u32 s18, s20, s0
	s_add_i32 s7, s7, s16
	s_mul_i32 s16, s10, s1
	s_add_i32 s18, s18, s17
	s_mul_i32 s0, s20, s0
	v_mul_u32_u24_e32 v1, 0xccd, v0
	s_add_u32 s0, s0, s16
	s_mul_i32 s3, s3, s22
	s_mul_hi_u32 s16, s2, s22
	v_lshrrev_b32_e32 v64, 16, v1
	s_addc_u32 s7, s18, s7
	s_add_i32 s16, s16, s3
	s_mul_i32 s2, s2, s22
	v_mul_lo_u16_e32 v1, 20, v64
	s_add_u32 s2, s2, s0
	v_sub_u16_e32 v65, v0, v1
	s_addc_u32 s3, s16, s7
	v_mov_b32_e32 v0, s6
	v_add_co_u32_e32 v40, vcc, s1, v65
	s_load_dwordx2 s[14:15], s[4:5], 0x0
	v_addc_co_u32_e32 v41, vcc, 0, v0, vcc
	s_add_u32 s0, s1, 20
	v_mov_b32_e32 v0, s24
	s_addc_u32 s1, s6, 0
	v_mov_b32_e32 v1, s25
	v_cmp_gt_u64_e32 vcc, s[0:1], v[0:1]
	v_cmp_le_u64_e64 s[0:1], s[0:1], v[0:1]
	s_cbranch_vccz .LBB0_12
; %bb.7:
	v_cmp_le_u64_e32 vcc, s[24:25], v[40:41]
                                        ; implicit-def: $vgpr66
                                        ; implicit-def: $vgpr43
                                        ; implicit-def: $vgpr42
                                        ; implicit-def: $vgpr44
	s_and_saveexec_b64 s[6:7], vcc
	s_xor_b64 s[6:7], exec, s[6:7]
; %bb.8:
	v_add_u32_e32 v66, 10, v64
	v_add_u32_e32 v43, 20, v64
	v_add_u32_e32 v42, 30, v64
	v_add_u32_e32 v44, 40, v64
; %bb.9:
	s_or_saveexec_b64 s[6:7], s[6:7]
                                        ; implicit-def: $vgpr0_vgpr1
                                        ; implicit-def: $vgpr4_vgpr5
                                        ; implicit-def: $vgpr8_vgpr9
                                        ; implicit-def: $vgpr12_vgpr13
                                        ; implicit-def: $vgpr16_vgpr17
                                        ; implicit-def: $vgpr20_vgpr21
                                        ; implicit-def: $vgpr24_vgpr25
                                        ; implicit-def: $vgpr28_vgpr29
                                        ; implicit-def: $vgpr32_vgpr33
                                        ; implicit-def: $vgpr36_vgpr37
	s_xor_b64 exec, exec, s[6:7]
	s_cbranch_execz .LBB0_11
; %bb.10:
	v_mad_u64_u32 v[0:1], s[16:17], s10, v65, 0
	v_mad_u64_u32 v[2:3], s[16:17], s8, v64, 0
	v_add_u32_e32 v7, 50, v64
	v_add_u32_e32 v66, 10, v64
	v_mad_u64_u32 v[4:5], s[16:17], s11, v65, v[1:2]
	v_mov_b32_e32 v1, v3
	v_mad_u64_u32 v[5:6], s[16:17], s9, v64, v[1:2]
	s_lshl_b64 s[16:17], s[2:3], 4
	s_add_u32 s18, s12, s16
	s_addc_u32 s16, s13, s17
	v_mov_b32_e32 v1, v4
	v_mov_b32_e32 v3, v5
	;; [unrolled: 1-line block ×3, first 2 shown]
	v_mad_u64_u32 v[4:5], s[16:17], s8, v7, 0
	v_lshlrev_b64 v[0:1], 4, v[0:1]
	v_mad_u64_u32 v[10:11], s[16:17], s8, v66, 0
	v_add_co_u32_e32 v39, vcc, s18, v0
	v_addc_co_u32_e32 v50, vcc, v6, v1, vcc
	v_lshlrev_b64 v[0:1], 4, v[2:3]
	v_mov_b32_e32 v2, v5
	v_mad_u64_u32 v[2:3], s[16:17], s9, v7, v[2:3]
	v_add_co_u32_e32 v8, vcc, v39, v0
	v_mov_b32_e32 v5, v2
	v_addc_co_u32_e32 v9, vcc, v50, v1, vcc
	v_lshlrev_b64 v[0:1], 4, v[4:5]
	v_add_u32_e32 v17, 60, v64
	v_add_co_u32_e32 v12, vcc, v39, v0
	v_mov_b32_e32 v0, v11
	v_mad_u64_u32 v[14:15], s[16:17], s9, v66, v[0:1]
	v_mad_u64_u32 v[15:16], s[16:17], s8, v17, 0
	v_mov_b32_e32 v11, v14
	v_addc_co_u32_e32 v13, vcc, v50, v1, vcc
	global_load_dwordx4 v[0:3], v[8:9], off
	global_load_dwordx4 v[4:7], v[12:13], off
	v_lshlrev_b64 v[8:9], 4, v[10:11]
	v_mov_b32_e32 v10, v16
	v_mad_u64_u32 v[10:11], s[16:17], s9, v17, v[10:11]
	v_add_u32_e32 v43, 20, v64
	v_mad_u64_u32 v[19:20], s[16:17], s8, v43, 0
	v_add_co_u32_e32 v17, vcc, v39, v8
	v_mov_b32_e32 v16, v10
	v_addc_co_u32_e32 v18, vcc, v50, v9, vcc
	v_lshlrev_b64 v[8:9], 4, v[15:16]
	v_add_u32_e32 v26, 0x46, v64
	v_add_co_u32_e32 v21, vcc, v39, v8
	v_mov_b32_e32 v8, v20
	v_mad_u64_u32 v[23:24], s[16:17], s9, v43, v[8:9]
	v_mad_u64_u32 v[24:25], s[16:17], s8, v26, 0
	v_addc_co_u32_e32 v22, vcc, v50, v9, vcc
	global_load_dwordx4 v[8:11], v[17:18], off
	global_load_dwordx4 v[12:15], v[21:22], off
	v_mov_b32_e32 v20, v23
	v_mov_b32_e32 v18, v25
	v_lshlrev_b64 v[16:17], 4, v[19:20]
	v_mad_u64_u32 v[18:19], s[16:17], s9, v26, v[18:19]
	v_add_co_u32_e32 v26, vcc, v39, v16
	v_mov_b32_e32 v25, v18
	v_add_u32_e32 v42, 30, v64
	v_addc_co_u32_e32 v27, vcc, v50, v17, vcc
	v_lshlrev_b64 v[16:17], 4, v[24:25]
	v_mad_u64_u32 v[24:25], s[16:17], s8, v42, 0
	v_add_co_u32_e32 v28, vcc, v39, v16
	v_mov_b32_e32 v16, v25
	v_mad_u64_u32 v[30:31], s[16:17], s9, v42, v[16:17]
	v_or_b32_e32 v33, 0x50, v64
	v_mad_u64_u32 v[31:32], s[16:17], s8, v33, 0
	v_addc_co_u32_e32 v29, vcc, v50, v17, vcc
	global_load_dwordx4 v[16:19], v[26:27], off
	global_load_dwordx4 v[20:23], v[28:29], off
	v_mov_b32_e32 v26, v32
	v_mad_u64_u32 v[26:27], s[16:17], s9, v33, v[26:27]
	v_mov_b32_e32 v25, v30
	v_lshlrev_b64 v[24:25], 4, v[24:25]
	v_add_u32_e32 v44, 40, v64
	v_mad_u64_u32 v[35:36], s[16:17], s8, v44, 0
	v_add_co_u32_e32 v33, vcc, v39, v24
	v_mov_b32_e32 v32, v26
	v_addc_co_u32_e32 v34, vcc, v50, v25, vcc
	v_lshlrev_b64 v[24:25], 4, v[31:32]
	v_add_u32_e32 v48, 0x5a, v64
	v_add_co_u32_e32 v37, vcc, v39, v24
	v_mov_b32_e32 v24, v36
	v_mad_u64_u32 v[45:46], s[16:17], s9, v44, v[24:25]
	v_mad_u64_u32 v[46:47], s[16:17], s8, v48, 0
	v_addc_co_u32_e32 v38, vcc, v50, v25, vcc
	global_load_dwordx4 v[24:27], v[33:34], off
	global_load_dwordx4 v[28:31], v[37:38], off
	v_mov_b32_e32 v36, v45
	v_mov_b32_e32 v34, v47
	v_lshlrev_b64 v[32:33], 4, v[35:36]
	v_mad_u64_u32 v[34:35], s[16:17], s9, v48, v[34:35]
	v_add_co_u32_e32 v48, vcc, v39, v32
	v_mov_b32_e32 v47, v34
	v_addc_co_u32_e32 v49, vcc, v50, v33, vcc
	v_lshlrev_b64 v[32:33], 4, v[46:47]
	v_add_co_u32_e32 v45, vcc, v39, v32
	v_addc_co_u32_e32 v46, vcc, v50, v33, vcc
	global_load_dwordx4 v[32:35], v[48:49], off
	global_load_dwordx4 v[36:39], v[45:46], off
.LBB0_11:
	s_or_b64 exec, exec, s[6:7]
	s_mov_b64 s[6:7], 0
	s_branch .LBB0_13
.LBB0_12:
	s_mov_b64 s[6:7], -1
                                        ; implicit-def: $vgpr0_vgpr1
                                        ; implicit-def: $vgpr4_vgpr5
                                        ; implicit-def: $vgpr8_vgpr9
                                        ; implicit-def: $vgpr12_vgpr13
                                        ; implicit-def: $vgpr66
                                        ; implicit-def: $vgpr43
                                        ; implicit-def: $vgpr42
                                        ; implicit-def: $vgpr44
                                        ; implicit-def: $vgpr16_vgpr17
                                        ; implicit-def: $vgpr20_vgpr21
                                        ; implicit-def: $vgpr24_vgpr25
                                        ; implicit-def: $vgpr28_vgpr29
                                        ; implicit-def: $vgpr32_vgpr33
                                        ; implicit-def: $vgpr36_vgpr37
.LBB0_13:
	s_andn2_b64 vcc, exec, s[6:7]
	v_add_u32_e32 v67, 60, v64
	v_add_u32_e32 v69, 20, v64
	;; [unrolled: 1-line block ×3, first 2 shown]
	s_cbranch_vccnz .LBB0_15
; %bb.14:
	s_waitcnt vmcnt(9)
	v_mad_u64_u32 v[0:1], s[6:7], s10, v65, 0
	v_mad_u64_u32 v[2:3], s[6:7], s8, v64, 0
	s_waitcnt vmcnt(8)
	v_add_u32_e32 v7, 50, v64
	v_add_u32_e32 v66, 10, v64
	v_mad_u64_u32 v[4:5], s[6:7], s11, v65, v[1:2]
	v_mov_b32_e32 v1, v3
	v_mad_u64_u32 v[5:6], s[6:7], s9, v64, v[1:2]
	s_lshl_b64 s[6:7], s[2:3], 4
	s_add_u32 s16, s12, s6
	s_addc_u32 s6, s13, s7
	v_mov_b32_e32 v1, v4
	v_mov_b32_e32 v3, v5
	;; [unrolled: 1-line block ×3, first 2 shown]
	v_mad_u64_u32 v[4:5], s[6:7], s8, v7, 0
	v_lshlrev_b64 v[0:1], 4, v[0:1]
	s_waitcnt vmcnt(7)
	v_mad_u64_u32 v[10:11], s[6:7], s8, v66, 0
	s_waitcnt vmcnt(0)
	v_add_co_u32_e32 v39, vcc, s16, v0
	v_addc_co_u32_e32 v48, vcc, v6, v1, vcc
	v_lshlrev_b64 v[0:1], 4, v[2:3]
	v_mov_b32_e32 v2, v5
	v_mad_u64_u32 v[2:3], s[6:7], s9, v7, v[2:3]
	v_add_co_u32_e32 v8, vcc, v39, v0
	v_mov_b32_e32 v5, v2
	v_addc_co_u32_e32 v9, vcc, v48, v1, vcc
	v_lshlrev_b64 v[0:1], 4, v[4:5]
	v_mad_u64_u32 v[19:20], s[6:7], s8, v69, 0
	v_add_co_u32_e32 v12, vcc, v39, v0
	v_mov_b32_e32 v0, v11
	v_mad_u64_u32 v[14:15], s[6:7], s9, v66, v[0:1]
	v_mad_u64_u32 v[15:16], s[6:7], s8, v67, 0
	v_mov_b32_e32 v11, v14
	v_addc_co_u32_e32 v13, vcc, v48, v1, vcc
	global_load_dwordx4 v[0:3], v[8:9], off
	global_load_dwordx4 v[4:7], v[12:13], off
	v_lshlrev_b64 v[8:9], 4, v[10:11]
	v_mov_b32_e32 v10, v16
	v_mad_u64_u32 v[10:11], s[6:7], s9, v67, v[10:11]
	v_add_co_u32_e32 v17, vcc, v39, v8
	v_mov_b32_e32 v16, v10
	v_addc_co_u32_e32 v18, vcc, v48, v9, vcc
	v_lshlrev_b64 v[8:9], 4, v[15:16]
	v_add_u32_e32 v26, 0x46, v64
	v_add_co_u32_e32 v21, vcc, v39, v8
	v_mov_b32_e32 v8, v20
	v_mad_u64_u32 v[23:24], s[6:7], s9, v69, v[8:9]
	v_mad_u64_u32 v[24:25], s[6:7], s8, v26, 0
	v_addc_co_u32_e32 v22, vcc, v48, v9, vcc
	global_load_dwordx4 v[8:11], v[17:18], off
	global_load_dwordx4 v[12:15], v[21:22], off
	v_mov_b32_e32 v20, v23
	v_mov_b32_e32 v18, v25
	v_lshlrev_b64 v[16:17], 4, v[19:20]
	v_mad_u64_u32 v[18:19], s[6:7], s9, v26, v[18:19]
	v_add_co_u32_e32 v26, vcc, v39, v16
	v_mov_b32_e32 v25, v18
	v_add_u32_e32 v42, 30, v64
	v_addc_co_u32_e32 v27, vcc, v48, v17, vcc
	v_lshlrev_b64 v[16:17], 4, v[24:25]
	v_mad_u64_u32 v[24:25], s[6:7], s8, v42, 0
	v_add_co_u32_e32 v28, vcc, v39, v16
	v_mov_b32_e32 v16, v25
	v_mad_u64_u32 v[30:31], s[6:7], s9, v42, v[16:17]
	v_or_b32_e32 v33, 0x50, v64
	v_mad_u64_u32 v[31:32], s[6:7], s8, v33, 0
	v_addc_co_u32_e32 v29, vcc, v48, v17, vcc
	global_load_dwordx4 v[16:19], v[26:27], off
	global_load_dwordx4 v[20:23], v[28:29], off
	v_mov_b32_e32 v26, v32
	v_mad_u64_u32 v[26:27], s[6:7], s9, v33, v[26:27]
	v_mov_b32_e32 v25, v30
	v_lshlrev_b64 v[24:25], 4, v[24:25]
	v_mad_u64_u32 v[35:36], s[6:7], s8, v68, 0
	v_add_co_u32_e32 v33, vcc, v39, v24
	v_mov_b32_e32 v32, v26
	v_addc_co_u32_e32 v34, vcc, v48, v25, vcc
	v_lshlrev_b64 v[24:25], 4, v[31:32]
	v_add_u32_e32 v46, 0x5a, v64
	v_add_co_u32_e32 v37, vcc, v39, v24
	v_mov_b32_e32 v24, v36
	v_mad_u64_u32 v[43:44], s[6:7], s9, v68, v[24:25]
	v_mad_u64_u32 v[44:45], s[6:7], s8, v46, 0
	v_addc_co_u32_e32 v38, vcc, v48, v25, vcc
	global_load_dwordx4 v[24:27], v[33:34], off
	global_load_dwordx4 v[28:31], v[37:38], off
	v_mov_b32_e32 v36, v43
	v_mov_b32_e32 v34, v45
	v_lshlrev_b64 v[32:33], 4, v[35:36]
	v_mad_u64_u32 v[34:35], s[6:7], s9, v46, v[34:35]
	v_add_co_u32_e32 v46, vcc, v39, v32
	v_mov_b32_e32 v45, v34
	v_addc_co_u32_e32 v47, vcc, v48, v33, vcc
	v_lshlrev_b64 v[32:33], 4, v[44:45]
	v_add_co_u32_e32 v43, vcc, v39, v32
	v_addc_co_u32_e32 v44, vcc, v48, v33, vcc
	global_load_dwordx4 v[32:35], v[46:47], off
	global_load_dwordx4 v[36:39], v[43:44], off
	v_mov_b32_e32 v44, v68
	v_mov_b32_e32 v43, v69
.LBB0_15:
	s_waitcnt vmcnt(8)
	v_add_f64 v[4:5], v[0:1], -v[4:5]
	v_add_f64 v[6:7], v[2:3], -v[6:7]
	s_waitcnt vmcnt(6)
	v_add_f64 v[12:13], v[8:9], -v[12:13]
	v_add_f64 v[14:15], v[10:11], -v[14:15]
	s_waitcnt vmcnt(4)
	v_add_f64 v[20:21], v[16:17], -v[20:21]
	v_add_f64 v[22:23], v[18:19], -v[22:23]
	s_waitcnt vmcnt(2)
	v_add_f64 v[28:29], v[24:25], -v[28:29]
	v_add_f64 v[30:31], v[26:27], -v[30:31]
	s_waitcnt vmcnt(0)
	v_add_f64 v[36:37], v[32:33], -v[36:37]
	v_add_f64 v[38:39], v[34:35], -v[38:39]
	v_fma_f64 v[45:46], v[0:1], 2.0, -v[4:5]
	v_fma_f64 v[47:48], v[2:3], 2.0, -v[6:7]
	;; [unrolled: 1-line block ×10, first 2 shown]
	v_mul_u32_u24_e32 v1, 0x280, v64
	v_lshlrev_b32_e32 v0, 4, v65
	v_add3_u32 v49, 0, v1, v0
	v_mul_i32_i24_e32 v1, 0x280, v66
	v_add3_u32 v50, 0, v1, v0
	v_mul_i32_i24_e32 v1, 0x280, v43
	;; [unrolled: 2-line block ×3, first 2 shown]
	ds_write_b128 v49, v[45:48]
	ds_write_b128 v49, v[4:7] offset:320
	ds_write_b128 v50, v[8:11]
	ds_write_b128 v50, v[12:15] offset:320
	;; [unrolled: 2-line block ×3, first 2 shown]
	v_add3_u32 v22, 0, v1, v0
	v_mul_i32_i24_e32 v1, 0x280, v44
	v_add3_u32 v23, 0, v1, v0
	v_and_b32_e32 v1, 1, v64
	v_mul_u32_u24_e32 v2, 9, v1
	ds_write_b128 v22, v[24:27]
	ds_write_b128 v22, v[28:31] offset:320
	v_lshlrev_b32_e32 v24, 4, v2
	ds_write_b128 v23, v[32:35]
	ds_write_b128 v23, v[36:39] offset:320
	s_waitcnt lgkmcnt(0)
	s_barrier
	global_load_dwordx4 v[2:5], v24, s[14:15]
	global_load_dwordx4 v[6:9], v24, s[14:15] offset:16
	global_load_dwordx4 v[10:13], v24, s[14:15] offset:32
	global_load_dwordx4 v[14:17], v24, s[14:15] offset:48
	global_load_dwordx4 v[18:21], v24, s[14:15] offset:64
	global_load_dwordx4 v[27:30], v24, s[14:15] offset:80
	global_load_dwordx4 v[31:34], v24, s[14:15] offset:96
	global_load_dwordx4 v[35:38], v24, s[14:15] offset:112
	global_load_dwordx4 v[45:48], v24, s[14:15] offset:128
	s_movk_i32 s26, 0xfec0
	v_mad_i32_i24 v73, v66, s26, v50
	v_mad_i32_i24 v24, v43, s26, v51
	;; [unrolled: 1-line block ×5, first 2 shown]
	ds_read_b128 v[49:52], v73
	ds_read_b128 v[53:56], v24
	;; [unrolled: 1-line block ×4, first 2 shown]
	ds_read_b128 v[78:81], v71 offset:19200
	ds_read_b128 v[82:85], v71 offset:22400
	;; [unrolled: 1-line block ×5, first 2 shown]
	ds_read_b128 v[98:101], v71
	s_mov_b32 s18, 0x134454ff
	s_mov_b32 s19, 0xbfee6f0e
	;; [unrolled: 1-line block ×14, first 2 shown]
	v_cmp_gt_u64_e32 vcc, s[24:25], v[40:41]
	s_waitcnt lgkmcnt(0)
	s_or_b64 s[0:1], s[0:1], vcc
	s_waitcnt vmcnt(0)
	s_barrier
	v_mul_f64 v[22:23], v[51:52], v[4:5]
	v_mul_f64 v[42:43], v[55:56], v[8:9]
	;; [unrolled: 1-line block ×10, first 2 shown]
	v_fma_f64 v[22:23], v[49:50], v[2:3], v[22:23]
	v_fma_f64 v[49:50], v[74:75], v[14:15], v[102:103]
	;; [unrolled: 1-line block ×4, first 2 shown]
	v_fma_f64 v[2:3], v[51:52], v[2:3], -v[4:5]
	v_fma_f64 v[53:54], v[86:87], v[35:36], v[110:111]
	v_fma_f64 v[4:5], v[55:56], v[6:7], -v[8:9]
	v_fma_f64 v[8:9], v[76:77], v[14:15], -v[16:17]
	;; [unrolled: 1-line block ×4, first 2 shown]
	v_mul_f64 v[61:62], v[59:60], v[12:13]
	v_add_f64 v[16:17], v[49:50], v[74:75]
	v_mul_f64 v[12:13], v[57:58], v[12:13]
	v_add_f64 v[29:30], v[42:43], v[53:54]
	v_mul_f64 v[104:105], v[96:97], v[20:21]
	v_mul_f64 v[20:21], v[94:95], v[20:21]
	;; [unrolled: 1-line block ×4, first 2 shown]
	v_add_f64 v[35:36], v[4:5], -v[14:15]
	v_fma_f64 v[16:17], v[16:17], -0.5, v[98:99]
	v_add_f64 v[37:38], v[8:9], -v[27:28]
	v_fma_f64 v[29:30], v[29:30], -0.5, v[98:99]
	v_mul_f64 v[112:113], v[92:93], v[47:48]
	v_mul_f64 v[47:48], v[90:91], v[47:48]
	v_fma_f64 v[6:7], v[57:58], v[10:11], v[61:62]
	v_fma_f64 v[10:11], v[59:60], v[10:11], -v[12:13]
	v_fma_f64 v[12:13], v[94:95], v[18:19], v[104:105]
	v_fma_f64 v[18:19], v[96:97], v[18:19], -v[20:21]
	;; [unrolled: 2-line block ×3, first 2 shown]
	v_add_f64 v[33:34], v[42:43], -v[49:50]
	v_add_f64 v[51:52], v[53:54], -v[74:75]
	;; [unrolled: 1-line block ×4, first 2 shown]
	v_fma_f64 v[59:60], v[35:36], s[18:19], v[16:17]
	v_fma_f64 v[16:17], v[35:36], s[16:17], v[16:17]
	;; [unrolled: 1-line block ×4, first 2 shown]
	v_add_f64 v[78:79], v[98:99], v[42:43]
	v_add_f64 v[76:77], v[8:9], v[27:28]
	;; [unrolled: 1-line block ×4, first 2 shown]
	v_fma_f64 v[55:56], v[37:38], s[22:23], v[59:60]
	v_fma_f64 v[16:17], v[37:38], s[20:21], v[16:17]
	;; [unrolled: 1-line block ×5, first 2 shown]
	v_fma_f64 v[35:36], v[92:93], v[45:46], -v[47:48]
	v_add_f64 v[44:45], v[78:79], v[49:50]
	v_fma_f64 v[46:47], v[76:77], -0.5, v[100:101]
	v_fma_f64 v[55:56], v[33:34], s[6:7], v[55:56]
	v_fma_f64 v[59:60], v[33:34], s[6:7], v[16:17]
	;; [unrolled: 1-line block ×3, first 2 shown]
	v_add_f64 v[16:17], v[42:43], -v[53:54]
	v_fma_f64 v[42:43], v[51:52], s[6:7], v[29:30]
	v_add_f64 v[29:30], v[4:5], v[14:15]
	v_add_f64 v[37:38], v[44:45], v[74:75]
	v_add_f64 v[44:45], v[4:5], -v[8:9]
	v_add_f64 v[51:52], v[14:15], -v[27:28]
	v_add_f64 v[61:62], v[100:101], v[4:5]
	v_add_f64 v[76:77], v[12:13], v[20:21]
	v_add_f64 v[48:49], v[49:50], -v[74:75]
	v_fma_f64 v[74:75], v[16:17], s[16:17], v[46:47]
	v_fma_f64 v[29:30], v[29:30], -0.5, v[100:101]
	v_fma_f64 v[46:47], v[16:17], s[18:19], v[46:47]
	v_add_f64 v[37:38], v[37:38], v[53:54]
	v_add_f64 v[44:45], v[44:45], v[51:52]
	;; [unrolled: 1-line block ×3, first 2 shown]
	v_fma_f64 v[52:53], v[76:77], -0.5, v[22:23]
	v_add_f64 v[61:62], v[10:11], -v[35:36]
	v_add_f64 v[4:5], v[8:9], -v[4:5]
	v_fma_f64 v[8:9], v[48:49], s[20:21], v[74:75]
	v_fma_f64 v[46:47], v[48:49], s[22:23], v[46:47]
	;; [unrolled: 1-line block ×4, first 2 shown]
	v_add_f64 v[48:49], v[27:28], -v[14:15]
	v_add_f64 v[27:28], v[50:51], v[27:28]
	v_add_f64 v[50:51], v[6:7], -v[12:13]
	v_add_f64 v[76:77], v[57:58], -v[20:21]
	v_fma_f64 v[78:79], v[61:62], s[18:19], v[52:53]
	v_add_f64 v[80:81], v[18:19], -v[31:32]
	v_fma_f64 v[52:53], v[61:62], s[16:17], v[52:53]
	v_add_f64 v[82:83], v[6:7], v[57:58]
	v_add_f64 v[4:5], v[4:5], v[48:49]
	v_fma_f64 v[48:49], v[16:17], s[20:21], v[74:75]
	v_fma_f64 v[16:17], v[16:17], s[22:23], v[29:30]
	v_add_f64 v[14:15], v[27:28], v[14:15]
	v_add_f64 v[27:28], v[50:51], v[76:77]
	v_fma_f64 v[29:30], v[80:81], s[22:23], v[78:79]
	v_fma_f64 v[74:75], v[44:45], s[6:7], v[8:9]
	v_add_f64 v[8:9], v[18:19], v[31:32]
	v_fma_f64 v[50:51], v[80:81], s[20:21], v[52:53]
	v_fma_f64 v[52:53], v[82:83], -0.5, v[22:23]
	v_fma_f64 v[76:77], v[44:45], s[6:7], v[46:47]
	v_add_f64 v[46:47], v[10:11], v[35:36]
	v_fma_f64 v[44:45], v[4:5], s[6:7], v[48:49]
	v_fma_f64 v[48:49], v[4:5], s[6:7], v[16:17]
	v_fma_f64 v[4:5], v[27:28], s[6:7], v[29:30]
	v_add_f64 v[29:30], v[6:7], -v[57:58]
	v_fma_f64 v[8:9], v[8:9], -0.5, v[2:3]
	v_fma_f64 v[16:17], v[27:28], s[6:7], v[50:51]
	v_fma_f64 v[27:28], v[80:81], s[16:17], v[52:53]
	v_add_f64 v[22:23], v[22:23], v[6:7]
	v_add_f64 v[50:51], v[10:11], -v[18:19]
	v_add_f64 v[78:79], v[35:36], -v[31:32]
	v_fma_f64 v[52:53], v[80:81], s[18:19], v[52:53]
	v_add_f64 v[80:81], v[12:13], -v[20:21]
	v_fma_f64 v[46:47], v[46:47], -0.5, v[2:3]
	v_fma_f64 v[82:83], v[29:30], s[16:17], v[8:9]
	v_add_f64 v[2:3], v[2:3], v[10:11]
	v_add_f64 v[6:7], v[12:13], -v[6:7]
	v_add_f64 v[12:13], v[22:23], v[12:13]
	v_add_f64 v[22:23], v[50:51], v[78:79]
	v_add_f64 v[10:11], v[18:19], -v[10:11]
	v_add_f64 v[50:51], v[31:32], -v[35:36]
	v_fma_f64 v[78:79], v[80:81], s[18:19], v[46:47]
	v_fma_f64 v[82:83], v[80:81], s[20:21], v[82:83]
	;; [unrolled: 1-line block ×3, first 2 shown]
	v_add_f64 v[2:3], v[2:3], v[18:19]
	v_fma_f64 v[8:9], v[29:30], s[18:19], v[8:9]
	v_add_f64 v[84:85], v[20:21], -v[57:58]
	v_add_f64 v[12:13], v[12:13], v[20:21]
	v_add_f64 v[10:11], v[10:11], v[50:51]
	v_fma_f64 v[18:19], v[29:30], s[20:21], v[78:79]
	v_fma_f64 v[20:21], v[22:23], s[6:7], v[82:83]
	;; [unrolled: 1-line block ×3, first 2 shown]
	v_add_f64 v[2:3], v[2:3], v[31:32]
	v_fma_f64 v[8:9], v[80:81], s[22:23], v[8:9]
	v_add_f64 v[6:7], v[6:7], v[84:85]
	v_fma_f64 v[27:28], v[61:62], s[22:23], v[27:28]
	v_fma_f64 v[46:47], v[61:62], s[20:21], v[52:53]
	;; [unrolled: 1-line block ×3, first 2 shown]
	v_mul_f64 v[31:32], v[20:21], s[22:23]
	v_fma_f64 v[10:11], v[10:11], s[6:7], v[29:30]
	v_add_f64 v[29:30], v[2:3], v[35:36]
	v_fma_f64 v[2:3], v[22:23], s[6:7], v[8:9]
	v_mul_f64 v[20:21], v[20:21], s[26:27]
	v_fma_f64 v[27:28], v[6:7], s[6:7], v[27:28]
	v_fma_f64 v[6:7], v[6:7], s[6:7], v[46:47]
	v_mul_f64 v[8:9], v[18:19], s[18:19]
	v_mul_f64 v[18:19], v[18:19], s[6:7]
	v_fma_f64 v[22:23], v[4:5], s[26:27], v[31:32]
	v_mul_f64 v[31:32], v[10:11], s[18:19]
	s_mov_b32 s27, 0xbfe9e377
	v_mul_f64 v[10:11], v[10:11], s[28:29]
	v_mul_f64 v[35:36], v[2:3], s[22:23]
	;; [unrolled: 1-line block ×3, first 2 shown]
	v_add_f64 v[12:13], v[12:13], v[57:58]
	v_fma_f64 v[20:21], v[4:5], s[20:21], v[20:21]
	v_fma_f64 v[50:51], v[27:28], s[6:7], v[8:9]
	v_fma_f64 v[52:53], v[27:28], s[16:17], v[18:19]
	v_fma_f64 v[57:58], v[6:7], s[28:29], v[31:32]
	v_fma_f64 v[78:79], v[6:7], s[16:17], v[10:11]
	v_fma_f64 v[61:62], v[16:17], s[26:27], v[35:36]
	v_fma_f64 v[80:81], v[16:17], s[20:21], v[46:47]
	v_add_f64 v[2:3], v[37:38], v[12:13]
	v_add_f64 v[4:5], v[14:15], v[29:30]
	;; [unrolled: 1-line block ×4, first 2 shown]
	v_add_f64 v[10:11], v[37:38], -v[12:13]
	v_add_f64 v[12:13], v[14:15], -v[29:30]
	v_add_f64 v[14:15], v[33:34], v[50:51]
	v_add_f64 v[16:17], v[44:45], v[52:53]
	v_add_f64 v[18:19], v[55:56], -v[22:23]
	v_add_f64 v[27:28], v[42:43], v[57:58]
	v_add_f64 v[29:30], v[48:49], v[78:79]
	v_lshrrev_b32_e32 v22, 1, v64
	v_add_f64 v[35:36], v[59:60], v[61:62]
	v_add_f64 v[37:38], v[76:77], v[80:81]
	v_mul_u32_u24_e32 v22, 20, v22
	v_or_b32_e32 v1, v22, v1
	v_add_f64 v[20:21], v[74:75], -v[20:21]
	v_mul_u32_u24_e32 v1, 0x140, v1
	v_add_f64 v[31:32], v[33:34], -v[50:51]
	v_add_f64 v[33:34], v[44:45], -v[52:53]
	v_add3_u32 v0, 0, v1, v0
	v_add_f64 v[42:43], v[42:43], -v[57:58]
	v_add_f64 v[46:47], v[59:60], -v[61:62]
	;; [unrolled: 1-line block ×4, first 2 shown]
	ds_write_b128 v0, v[2:5]
	ds_write_b128 v0, v[6:9] offset:640
	ds_write_b128 v0, v[14:17] offset:1280
	;; [unrolled: 1-line block ×9, first 2 shown]
	s_waitcnt lgkmcnt(0)
	s_barrier
	s_and_saveexec_b64 s[24:25], s[0:1]
	s_cbranch_execz .LBB0_17
; %bb.16:
	v_lshlrev_b32_e32 v27, 6, v64
	global_load_dwordx4 v[28:31], v27, s[14:15] offset:288
	global_load_dwordx4 v[41:44], v27, s[14:15] offset:336
	s_movk_i32 s0, 0xcd
	v_mul_lo_u16_sdwa v0, v66, s0 dst_sel:DWORD dst_unused:UNUSED_PAD src0_sel:BYTE_0 src1_sel:DWORD
	v_lshrrev_b16_e32 v70, 12, v0
	v_mul_lo_u16_e32 v0, 20, v70
	v_sub_u16_e32 v0, v66, v0
	v_and_b32_e32 v36, 0xff, v0
	v_lshlrev_b32_e32 v0, 6, v36
	global_load_dwordx4 v[45:48], v0, s[14:15] offset:288
	global_load_dwordx4 v[49:52], v0, s[14:15] offset:336
	global_load_dwordx4 v[20:23], v0, s[14:15] offset:304
	v_mul_lo_u32 v79, v40, v36
	s_load_dwordx2 s[0:1], s[4:5], 0x8
	global_load_dwordx4 v[8:11], v0, s[14:15] offset:320
	v_mov_b32_e32 v38, 4
	v_mov_b32_e32 v39, 0x1000
	v_bfe_u32 v4, v79, 8, 8
	v_lshlrev_b32_sdwa v0, v38, v79 dst_sel:DWORD dst_unused:UNUSED_PAD src0_sel:DWORD src1_sel:BYTE_0
	v_lshl_or_b32 v4, v4, 4, v39
	s_waitcnt lgkmcnt(0)
	global_load_dwordx4 v[0:3], v0, s[0:1]
	v_add_u32_e32 v12, 0x50, v36
	global_load_dwordx4 v[4:7], v4, s[0:1]
	v_mul_lo_u32 v75, v40, v12
	ds_read_b128 v[53:56], v24
	ds_read_b128 v[57:60], v71 offset:25600
	v_add_u32_e32 v37, 60, v36
	v_bfe_u32 v16, v75, 8, 8
	v_lshlrev_b32_sdwa v12, v38, v75 dst_sel:DWORD dst_unused:UNUSED_PAD src0_sel:DWORD src1_sel:BYTE_0
	v_lshl_or_b32 v16, v16, 4, v39
	global_load_dwordx4 v[12:15], v12, s[0:1]
	v_mul_lo_u32 v116, v40, v37
	global_load_dwordx4 v[16:19], v16, s[0:1]
	v_or_b32_e32 v72, 0x50, v64
	v_mul_lo_u32 v124, v40, v72
	v_mul_lo_u32 v78, v40, v67
	;; [unrolled: 1-line block ×5, first 2 shown]
	s_lshl_b64 s[2:3], s[2:3], 4
	ds_read_b128 v[80:83], v71 offset:28800
	s_waitcnt vmcnt(9) lgkmcnt(2)
	v_mul_f64 v[24:25], v[53:54], v[30:31]
	v_mul_f64 v[30:31], v[55:56], v[30:31]
	s_waitcnt vmcnt(8) lgkmcnt(1)
	v_mul_f64 v[61:62], v[57:58], v[43:44]
	v_fma_f64 v[32:33], v[55:56], v[28:29], -v[24:25]
	v_mul_f64 v[24:25], v[59:60], v[43:44]
	v_fma_f64 v[34:35], v[53:54], v[28:29], v[30:31]
	ds_read_b128 v[53:56], v71 offset:9600
	v_fma_f64 v[28:29], v[59:60], v[41:42], -v[61:62]
	s_waitcnt vmcnt(7) lgkmcnt(0)
	v_mul_f64 v[43:44], v[53:54], v[47:48]
	v_fma_f64 v[30:31], v[57:58], v[41:42], v[24:25]
	v_mul_f64 v[24:25], v[55:56], v[47:48]
	s_waitcnt vmcnt(6)
	v_mul_f64 v[41:42], v[80:81], v[51:52]
	v_fma_f64 v[58:59], v[55:56], v[45:46], -v[43:44]
	v_fma_f64 v[62:63], v[53:54], v[45:46], v[24:25]
	v_mul_f64 v[24:25], v[82:83], v[51:52]
	ds_read_b128 v[44:47], v71 offset:16000
	v_fma_f64 v[42:43], v[82:83], v[49:50], -v[41:42]
	s_waitcnt vmcnt(5) lgkmcnt(0)
	v_mul_f64 v[51:52], v[44:45], v[22:23]
	v_fma_f64 v[60:61], v[80:81], v[49:50], v[24:25]
	v_mul_f64 v[48:49], v[46:47], v[22:23]
	ds_read_b128 v[22:25], v71 offset:22400
	v_add_f64 v[108:109], v[58:59], -v[42:43]
	v_fma_f64 v[80:81], v[46:47], v[20:21], -v[51:52]
	s_waitcnt vmcnt(4) lgkmcnt(0)
	v_mul_f64 v[53:54], v[22:23], v[10:11]
	v_mul_f64 v[10:11], v[24:25], v[10:11]
	v_fma_f64 v[82:83], v[44:45], v[20:21], v[48:49]
	s_waitcnt vmcnt(2)
	v_mul_f64 v[44:45], v[2:3], v[6:7]
	v_mul_f64 v[46:47], v[0:1], v[6:7]
	v_add_u32_e32 v20, 40, v36
	v_mul_lo_u32 v122, v40, v20
	v_lshlrev_b32_sdwa v20, v38, v116 dst_sel:DWORD dst_unused:UNUSED_PAD src0_sel:DWORD src1_sel:BYTE_0
	v_fma_f64 v[84:85], v[24:25], v[8:9], -v[53:54]
	v_fma_f64 v[86:87], v[22:23], v[8:9], v[10:11]
	v_bfe_u32 v10, v116, 8, 8
	v_lshl_or_b32 v10, v10, 4, v39
	global_load_dwordx4 v[6:9], v20, s[0:1]
	v_fma_f64 v[88:89], v[0:1], v[4:5], -v[44:45]
	global_load_dwordx4 v[20:23], v10, s[0:1]
	v_fma_f64 v[90:91], v[2:3], v[4:5], v[46:47]
	s_waitcnt vmcnt(2)
	v_mul_f64 v[4:5], v[14:15], v[18:19]
	v_mul_f64 v[10:11], v[12:13], v[18:19]
	v_bfe_u32 v18, v122, 8, 8
	v_lshlrev_b32_sdwa v0, v38, v122 dst_sel:DWORD dst_unused:UNUSED_PAD src0_sel:DWORD src1_sel:BYTE_0
	v_lshl_or_b32 v24, v18, 4, v39
	global_load_dwordx4 v[0:3], v0, s[0:1]
	v_add_f64 v[112:113], v[62:63], -v[60:61]
	v_add_f64 v[110:111], v[80:81], -v[84:85]
	v_fma_f64 v[18:19], v[12:13], v[16:17], -v[4:5]
	v_fma_f64 v[14:15], v[14:15], v[16:17], v[10:11]
	global_load_dwordx4 v[10:13], v24, s[0:1]
	v_add_f64 v[114:115], v[82:83], -v[86:87]
	s_waitcnt vmcnt(2)
	v_mul_f64 v[4:5], v[8:9], v[22:23]
	v_mul_f64 v[16:17], v[6:7], v[22:23]
	v_add_u32_e32 v22, 20, v36
	v_mul_lo_u32 v123, v40, v22
	v_fma_f64 v[22:23], v[6:7], v[20:21], -v[4:5]
	v_lshlrev_b32_sdwa v4, v38, v123 dst_sel:DWORD dst_unused:UNUSED_PAD src0_sel:DWORD src1_sel:BYTE_0
	global_load_dwordx4 v[4:7], v4, s[0:1]
	v_fma_f64 v[8:9], v[8:9], v[20:21], v[16:17]
	s_waitcnt vmcnt(1)
	v_mul_f64 v[16:17], v[2:3], v[12:13]
	v_mul_f64 v[12:13], v[0:1], v[12:13]
	v_bfe_u32 v20, v123, 8, 8
	v_lshl_or_b32 v24, v20, 4, v39
	v_fma_f64 v[20:21], v[0:1], v[10:11], -v[16:17]
	v_fma_f64 v[12:13], v[2:3], v[10:11], v[12:13]
	global_load_dwordx4 v[0:3], v24, s[0:1]
	s_waitcnt vmcnt(0)
	v_mul_f64 v[10:11], v[6:7], v[2:3]
	v_mul_f64 v[2:3], v[4:5], v[2:3]
	v_fma_f64 v[92:93], v[4:5], v[0:1], -v[10:11]
	v_fma_f64 v[94:95], v[6:7], v[0:1], v[2:3]
	global_load_dwordx4 v[0:3], v27, s[14:15] offset:304
	ds_read_b128 v[4:7], v26
	s_waitcnt vmcnt(0) lgkmcnt(0)
	v_mul_f64 v[10:11], v[4:5], v[2:3]
	v_mul_f64 v[2:3], v[6:7], v[2:3]
	v_fma_f64 v[46:47], v[6:7], v[0:1], -v[10:11]
	v_fma_f64 v[48:49], v[4:5], v[0:1], v[2:3]
	global_load_dwordx4 v[0:3], v27, s[14:15] offset:320
	ds_read_b128 v[4:7], v71 offset:19200
	s_waitcnt vmcnt(0) lgkmcnt(0)
	v_mul_f64 v[10:11], v[4:5], v[2:3]
	v_mul_f64 v[2:3], v[6:7], v[2:3]
	v_fma_f64 v[36:37], v[6:7], v[0:1], -v[10:11]
	v_fma_f64 v[44:45], v[4:5], v[0:1], v[2:3]
	v_bfe_u32 v0, v124, 8, 8
	v_lshlrev_b32_sdwa v11, v38, v124 dst_sel:DWORD dst_unused:UNUSED_PAD src0_sel:DWORD src1_sel:BYTE_0
	v_lshl_or_b32 v10, v0, 4, v39
	global_load_dwordx4 v[0:3], v11, s[0:1]
	global_load_dwordx4 v[4:7], v10, s[0:1]
	s_waitcnt vmcnt(0)
	v_mul_f64 v[10:11], v[2:3], v[6:7]
	v_fma_f64 v[96:97], v[0:1], v[4:5], -v[10:11]
	v_mul_f64 v[0:1], v[0:1], v[6:7]
	v_lshlrev_b32_sdwa v11, v38, v78 dst_sel:DWORD dst_unused:UNUSED_PAD src0_sel:DWORD src1_sel:BYTE_0
	v_fma_f64 v[98:99], v[2:3], v[4:5], v[0:1]
	v_bfe_u32 v0, v78, 8, 8
	v_lshl_or_b32 v10, v0, 4, v39
	global_load_dwordx4 v[0:3], v11, s[0:1]
	global_load_dwordx4 v[4:7], v10, s[0:1]
	s_waitcnt vmcnt(0)
	v_mul_f64 v[10:11], v[2:3], v[6:7]
	v_fma_f64 v[24:25], v[0:1], v[4:5], -v[10:11]
	v_mul_f64 v[0:1], v[0:1], v[6:7]
	v_lshlrev_b32_sdwa v11, v38, v76 dst_sel:DWORD dst_unused:UNUSED_PAD src0_sel:DWORD src1_sel:BYTE_0
	v_fma_f64 v[26:27], v[2:3], v[4:5], v[0:1]
	v_bfe_u32 v0, v76, 8, 8
	;; [unrolled: 10-line block ×4, first 2 shown]
	v_lshl_or_b32 v10, v0, 4, v39
	global_load_dwordx4 v[0:3], v11, s[0:1]
	global_load_dwordx4 v[4:7], v10, s[0:1]
	s_waitcnt vmcnt(0)
	v_mul_f64 v[10:11], v[2:3], v[6:7]
	v_fma_f64 v[38:39], v[0:1], v[4:5], -v[10:11]
	v_mul_f64 v[0:1], v[0:1], v[6:7]
	v_add_f64 v[6:7], v[42:43], -v[84:85]
	v_fma_f64 v[40:41], v[2:3], v[4:5], v[0:1]
	v_bfe_u32 v0, v75, 16, 8
	v_mov_b32_e32 v75, 0x2000
	v_lshl_or_b32 v0, v0, 4, v75
	global_load_dwordx4 v[0:3], v0, s[0:1]
	s_waitcnt vmcnt(0)
	v_mul_f64 v[4:5], v[14:15], v[2:3]
	v_mul_f64 v[2:3], v[18:19], v[2:3]
	v_fma_f64 v[4:5], v[0:1], v[18:19], -v[4:5]
	v_fma_f64 v[0:1], v[0:1], v[14:15], v[2:3]
	v_add_f64 v[2:3], v[58:59], -v[80:81]
	ds_read_b128 v[16:19], v73
	v_add_f64 v[100:101], v[2:3], v[6:7]
	v_add_f64 v[2:3], v[62:63], -v[82:83]
	v_add_f64 v[6:7], v[60:61], -v[86:87]
	v_add_f64 v[102:103], v[2:3], v[6:7]
	v_add_f64 v[2:3], v[80:81], v[84:85]
	s_waitcnt lgkmcnt(0)
	v_fma_f64 v[104:105], v[2:3], -0.5, v[18:19]
	v_add_f64 v[2:3], v[82:83], v[86:87]
	v_fma_f64 v[6:7], v[112:113], s[18:19], v[104:105]
	v_fma_f64 v[106:107], v[2:3], -0.5, v[16:17]
	v_fma_f64 v[6:7], v[114:115], s[22:23], v[6:7]
	v_fma_f64 v[2:3], v[108:109], s[16:17], v[106:107]
	;; [unrolled: 1-line block ×5, first 2 shown]
	v_mul_f64 v[6:7], v[10:11], v[0:1]
	v_mul_f64 v[0:1], v[2:3], v[0:1]
	v_fma_f64 v[2:3], v[2:3], v[4:5], -v[6:7]
	v_fma_f64 v[0:1], v[10:11], v[4:5], v[0:1]
	v_bfe_u32 v4, v116, 16, 8
	v_lshl_or_b32 v4, v4, 4, v75
	global_load_dwordx4 v[4:7], v4, s[0:1]
	s_waitcnt vmcnt(0)
	v_mul_f64 v[10:11], v[8:9], v[6:7]
	v_mul_f64 v[6:7], v[22:23], v[6:7]
	v_fma_f64 v[10:11], v[4:5], v[22:23], -v[10:11]
	v_fma_f64 v[4:5], v[4:5], v[8:9], v[6:7]
	v_add_f64 v[6:7], v[80:81], -v[58:59]
	v_add_f64 v[8:9], v[84:85], -v[42:43]
	v_add_f64 v[14:15], v[6:7], v[8:9]
	v_add_f64 v[6:7], v[82:83], -v[62:63]
	v_add_f64 v[8:9], v[86:87], -v[60:61]
	v_add_f64 v[22:23], v[6:7], v[8:9]
	v_add_f64 v[6:7], v[62:63], v[60:61]
	v_fma_f64 v[116:117], v[6:7], -0.5, v[16:17]
	v_add_f64 v[6:7], v[58:59], v[42:43]
	v_add_f64 v[16:17], v[16:17], v[62:63]
	v_fma_f64 v[118:119], v[6:7], -0.5, v[18:19]
	v_fma_f64 v[6:7], v[110:111], s[18:19], v[116:117]
	v_add_f64 v[18:19], v[18:19], v[58:59]
	v_add_f64 v[16:17], v[16:17], v[82:83]
	v_fma_f64 v[8:9], v[114:115], s[16:17], v[118:119]
	v_fma_f64 v[6:7], v[108:109], s[20:21], v[6:7]
	v_add_f64 v[18:19], v[18:19], v[80:81]
	v_add_f64 v[16:17], v[16:17], v[86:87]
	v_fma_f64 v[8:9], v[112:113], s[22:23], v[8:9]
	;; [unrolled: 4-line block ×3, first 2 shown]
	v_mul_f64 v[8:9], v[120:121], v[4:5]
	v_add_f64 v[18:19], v[18:19], v[42:43]
	v_add_f64 v[42:43], v[32:33], -v[46:47]
	v_mul_f64 v[4:5], v[6:7], v[4:5]
	v_fma_f64 v[6:7], v[6:7], v[10:11], -v[8:9]
	v_bfe_u32 v8, v122, 16, 8
	v_lshl_or_b32 v8, v8, 4, v75
	v_fma_f64 v[4:5], v[120:121], v[10:11], v[4:5]
	global_load_dwordx4 v[8:11], v8, s[0:1]
	s_waitcnt vmcnt(0)
	v_mul_f64 v[120:121], v[12:13], v[10:11]
	v_mul_f64 v[10:11], v[20:21], v[10:11]
	v_fma_f64 v[120:121], v[8:9], v[20:21], -v[120:121]
	v_fma_f64 v[8:9], v[8:9], v[12:13], v[10:11]
	v_fma_f64 v[10:11], v[110:111], s[16:17], v[116:117]
	v_fma_f64 v[10:11], v[108:109], s[22:23], v[10:11]
	v_fma_f64 v[12:13], v[22:23], s[6:7], v[10:11]
	v_fma_f64 v[10:11], v[114:115], s[18:19], v[118:119]
	v_fma_f64 v[22:23], v[112:113], s[16:17], v[104:105]
	v_fma_f64 v[10:11], v[112:113], s[20:21], v[10:11]
	v_fma_f64 v[22:23], v[114:115], s[20:21], v[22:23]
	v_fma_f64 v[10:11], v[14:15], s[6:7], v[10:11]
	v_mul_f64 v[14:15], v[12:13], v[8:9]
	v_mul_f64 v[8:9], v[10:11], v[8:9]
	v_fma_f64 v[10:11], v[10:11], v[120:121], -v[14:15]
	v_fma_f64 v[8:9], v[12:13], v[120:121], v[8:9]
	v_bfe_u32 v12, v123, 16, 8
	v_lshl_or_b32 v12, v12, 4, v75
	global_load_dwordx4 v[12:15], v12, s[0:1]
	s_waitcnt vmcnt(0)
	v_mul_f64 v[20:21], v[94:95], v[14:15]
	v_mul_f64 v[14:15], v[92:93], v[14:15]
	v_fma_f64 v[20:21], v[12:13], v[92:93], -v[20:21]
	v_fma_f64 v[12:13], v[12:13], v[94:95], v[14:15]
	v_fma_f64 v[14:15], v[108:109], s[18:19], v[106:107]
	;; [unrolled: 1-line block ×5, first 2 shown]
	v_mul_f64 v[22:23], v[92:93], v[12:13]
	v_mul_f64 v[12:13], v[14:15], v[12:13]
	v_fma_f64 v[14:15], v[14:15], v[20:21], -v[22:23]
	v_fma_f64 v[12:13], v[92:93], v[20:21], v[12:13]
	v_bfe_u32 v20, v79, 16, 8
	v_lshl_or_b32 v20, v20, 4, v75
	global_load_dwordx4 v[20:23], v20, s[0:1]
	ds_read_b128 v[79:82], v71
	s_waitcnt vmcnt(0)
	v_mul_f64 v[92:93], v[90:91], v[22:23]
	v_mul_f64 v[22:23], v[88:89], v[22:23]
	v_fma_f64 v[92:93], v[20:21], v[88:89], -v[92:93]
	v_fma_f64 v[20:21], v[20:21], v[90:91], v[22:23]
	v_add_f64 v[87:88], v[32:33], -v[28:29]
	v_add_f64 v[89:90], v[46:47], -v[36:37]
	v_mul_f64 v[22:23], v[16:17], v[20:21]
	v_mul_f64 v[20:21], v[18:19], v[20:21]
	v_fma_f64 v[18:19], v[18:19], v[92:93], -v[22:23]
	v_fma_f64 v[16:17], v[16:17], v[92:93], v[20:21]
	v_bfe_u32 v20, v124, 16, 8
	v_lshl_or_b32 v20, v20, 4, v75
	global_load_dwordx4 v[58:61], v20, s[0:1]
	v_add_f64 v[91:92], v[34:35], -v[30:31]
	v_add_f64 v[93:94], v[48:49], -v[44:45]
	s_waitcnt vmcnt(0)
	v_mul_f64 v[20:21], v[98:99], v[60:61]
	v_mul_f64 v[22:23], v[96:97], v[60:61]
	v_add_f64 v[60:61], v[30:31], -v[44:45]
	v_fma_f64 v[20:21], v[58:59], v[96:97], -v[20:21]
	v_fma_f64 v[22:23], v[58:59], v[98:99], v[22:23]
	v_add_f64 v[58:59], v[28:29], -v[36:37]
	v_add_f64 v[42:43], v[42:43], v[58:59]
	v_add_f64 v[58:59], v[34:35], -v[48:49]
	v_add_f64 v[58:59], v[58:59], v[60:61]
	v_add_f64 v[60:61], v[46:47], v[36:37]
	s_waitcnt lgkmcnt(0)
	v_fma_f64 v[83:84], v[60:61], -0.5, v[81:82]
	v_add_f64 v[60:61], v[48:49], v[44:45]
	v_fma_f64 v[62:63], v[91:92], s[18:19], v[83:84]
	v_fma_f64 v[85:86], v[60:61], -0.5, v[79:80]
	v_fma_f64 v[62:63], v[93:94], s[22:23], v[62:63]
	v_fma_f64 v[60:61], v[87:88], s[16:17], v[85:86]
	;; [unrolled: 1-line block ×4, first 2 shown]
	v_mul_f64 v[97:98], v[62:63], v[22:23]
	v_fma_f64 v[60:61], v[58:59], s[6:7], v[60:61]
	v_mul_f64 v[95:96], v[60:61], v[22:23]
	v_fma_f64 v[22:23], v[62:63], v[20:21], -v[95:96]
	v_fma_f64 v[20:21], v[60:61], v[20:21], v[97:98]
	v_bfe_u32 v60, v78, 16, 8
	v_lshl_or_b32 v60, v60, 4, v75
	global_load_dwordx4 v[60:63], v60, s[0:1]
	s_waitcnt vmcnt(0)
	v_mul_f64 v[95:96], v[26:27], v[62:63]
	v_fma_f64 v[95:96], v[60:61], v[24:25], -v[95:96]
	v_mul_f64 v[24:25], v[24:25], v[62:63]
	v_fma_f64 v[24:25], v[60:61], v[26:27], v[24:25]
	v_add_f64 v[26:27], v[46:47], -v[32:33]
	v_add_f64 v[60:61], v[36:37], -v[28:29]
	v_add_f64 v[97:98], v[26:27], v[60:61]
	v_add_f64 v[26:27], v[48:49], -v[34:35]
	v_add_f64 v[60:61], v[44:45], -v[30:31]
	v_add_f64 v[99:100], v[26:27], v[60:61]
	v_add_f64 v[26:27], v[34:35], v[30:31]
	;; [unrolled: 1-line block ×3, first 2 shown]
	v_fma_f64 v[101:102], v[26:27], -0.5, v[79:80]
	v_add_f64 v[26:27], v[32:33], v[28:29]
	v_add_f64 v[32:33], v[81:82], v[32:33]
	;; [unrolled: 1-line block ×3, first 2 shown]
	v_fma_f64 v[103:104], v[26:27], -0.5, v[81:82]
	v_fma_f64 v[26:27], v[89:90], s[18:19], v[101:102]
	v_add_f64 v[46:47], v[32:33], v[46:47]
	v_bfe_u32 v32, v74, 16, 8
	v_lshl_or_b32 v32, v32, 4, v75
	v_add_f64 v[44:45], v[34:35], v[44:45]
	global_load_dwordx4 v[32:35], v32, s[0:1]
	v_fma_f64 v[60:61], v[93:94], s[16:17], v[103:104]
	v_fma_f64 v[26:27], v[87:88], s[20:21], v[26:27]
	v_add_f64 v[36:37], v[46:47], v[36:37]
	v_add_f64 v[44:45], v[44:45], v[30:31]
	v_fma_f64 v[60:61], v[91:92], s[22:23], v[60:61]
	v_fma_f64 v[62:63], v[99:100], s[6:7], v[26:27]
	;; [unrolled: 1-line block ×3, first 2 shown]
	v_mul_f64 v[60:61], v[62:63], v[24:25]
	v_mul_f64 v[24:25], v[26:27], v[24:25]
	v_fma_f64 v[26:27], v[26:27], v[95:96], -v[60:61]
	v_bfe_u32 v60, v76, 16, 8
	v_lshl_or_b32 v60, v60, 4, v75
	v_fma_f64 v[24:25], v[62:63], v[95:96], v[24:25]
	global_load_dwordx4 v[60:63], v60, s[0:1]
	s_waitcnt vmcnt(0)
	v_mul_f64 v[95:96], v[52:53], v[62:63]
	v_fma_f64 v[95:96], v[60:61], v[50:51], -v[95:96]
	v_mul_f64 v[50:51], v[50:51], v[62:63]
	v_fma_f64 v[60:61], v[60:61], v[52:53], v[50:51]
	v_bfe_u32 v50, v77, 16, 8
	v_lshl_or_b32 v50, v50, 4, v75
	global_load_dwordx4 v[50:53], v50, s[0:1]
	v_fma_f64 v[76:77], v[91:92], s[16:17], v[83:84]
	s_add_u32 s1, s12, s2
	s_addc_u32 s2, s13, s3
	s_movk_i32 s0, 0x50
	s_waitcnt vmcnt(0)
	v_mul_f64 v[62:63], v[56:57], v[52:53]
	v_mul_f64 v[52:53], v[54:55], v[52:53]
	v_fma_f64 v[62:63], v[50:51], v[54:55], -v[62:63]
	v_fma_f64 v[50:51], v[50:51], v[56:57], v[52:53]
	v_fma_f64 v[52:53], v[89:90], s[16:17], v[101:102]
	;; [unrolled: 1-line block ×11, first 2 shown]
	v_mul_f64 v[46:47], v[52:53], v[60:61]
	v_mul_f64 v[58:59], v[48:49], v[60:61]
	v_fma_f64 v[42:43], v[42:43], s[6:7], v[56:57]
	v_mul_f64 v[56:57], v[38:39], v[34:35]
	v_mul_f64 v[60:61], v[54:55], v[50:51]
	v_fma_f64 v[30:31], v[48:49], v[95:96], -v[46:47]
	v_add_f64 v[46:47], v[36:37], v[28:29]
	v_mul_f64 v[50:51], v[42:43], v[50:51]
	v_fma_f64 v[56:57], v[32:33], v[40:41], v[56:57]
	v_mul_f64 v[40:41], v[40:41], v[34:35]
	v_fma_f64 v[36:37], v[42:43], v[62:63], -v[60:61]
	v_mad_u64_u32 v[42:43], s[4:5], s10, v65, 0
	v_fma_f64 v[28:29], v[52:53], v[95:96], v[58:59]
	v_fma_f64 v[34:35], v[54:55], v[62:63], v[50:51]
	v_mul_f64 v[48:49], v[46:47], v[56:57]
	v_fma_f64 v[32:33], v[32:33], v[38:39], -v[40:41]
	v_mul_f64 v[38:39], v[44:45], v[56:57]
	v_mov_b32_e32 v40, v43
	v_mad_u64_u32 v[50:51], s[4:5], s8, v64, 0
	v_mad_u64_u32 v[52:53], s[4:5], s11, v65, v[40:41]
	v_mov_b32_e32 v40, v51
	v_mad_u64_u32 v[53:54], s[4:5], s9, v64, v[40:41]
	v_mov_b32_e32 v43, v52
	v_fma_f64 v[40:41], v[46:47], v[32:33], -v[38:39]
	v_fma_f64 v[38:39], v[44:45], v[32:33], v[48:49]
	v_lshlrev_b64 v[32:33], 4, v[42:43]
	v_mov_b32_e32 v51, v53
	v_add_co_u32_e32 v46, vcc, s1, v32
	v_mov_b32_e32 v32, s2
	v_addc_co_u32_e32 v47, vcc, v32, v33, vcc
	v_mad_u64_u32 v[32:33], s[2:3], s8, v69, 0
	v_lshlrev_b64 v[42:43], 4, v[50:51]
	v_add_co_u32_e32 v42, vcc, v46, v42
	v_mad_u64_u32 v[44:45], s[2:3], s9, v69, v[33:34]
	v_addc_co_u32_e32 v43, vcc, v47, v43, vcc
	global_store_dwordx4 v[42:43], v[38:41], off
	v_mov_b32_e32 v33, v44
	v_mad_u64_u32 v[38:39], s[2:3], s8, v68, 0
	v_lshlrev_b64 v[32:33], 4, v[32:33]
	v_mad_u64_u32 v[39:40], s[2:3], s9, v68, v[39:40]
	v_add_co_u32_e32 v32, vcc, v46, v32
	v_addc_co_u32_e32 v33, vcc, v47, v33, vcc
	global_store_dwordx4 v[32:33], v[34:37], off
	v_mad_u64_u32 v[32:33], s[2:3], s8, v67, 0
	v_lshlrev_b64 v[34:35], 4, v[38:39]
	v_add_co_u32_e32 v34, vcc, v46, v34
	v_mad_u64_u32 v[36:37], s[2:3], s9, v67, v[33:34]
	v_addc_co_u32_e32 v35, vcc, v47, v35, vcc
	global_store_dwordx4 v[34:35], v[28:31], off
	v_mov_b32_e32 v33, v36
	v_mad_u64_u32 v[28:29], s[2:3], s8, v72, 0
	v_lshlrev_b64 v[30:31], 4, v[32:33]
	v_add_co_u32_e32 v30, vcc, v46, v30
	v_mad_u64_u32 v[32:33], s[2:3], s9, v72, v[29:30]
	v_addc_co_u32_e32 v31, vcc, v47, v31, vcc
	global_store_dwordx4 v[30:31], v[24:27], off
	v_mad_u32_u24 v30, v70, s0, v66
	v_mov_b32_e32 v29, v32
	v_mad_u64_u32 v[24:25], s[0:1], s8, v30, 0
	v_lshlrev_b64 v[26:27], 4, v[28:29]
	v_add_co_u32_e32 v26, vcc, v46, v26
	v_mad_u64_u32 v[28:29], s[0:1], s9, v30, v[25:26]
	v_addc_co_u32_e32 v27, vcc, v47, v27, vcc
	global_store_dwordx4 v[26:27], v[20:23], off
	v_add_u32_e32 v26, 20, v30
	v_mov_b32_e32 v25, v28
	v_mad_u64_u32 v[20:21], s[0:1], s8, v26, 0
	v_lshlrev_b64 v[22:23], 4, v[24:25]
	v_add_co_u32_e32 v22, vcc, v46, v22
	v_mad_u64_u32 v[24:25], s[0:1], s9, v26, v[21:22]
	v_addc_co_u32_e32 v23, vcc, v47, v23, vcc
	global_store_dwordx4 v[22:23], v[16:19], off
	v_add_u32_e32 v22, 40, v30
	;; [unrolled: 8-line block ×4, first 2 shown]
	v_mov_b32_e32 v13, v16
	v_mad_u64_u32 v[8:9], s[0:1], s8, v14, 0
	v_lshlrev_b64 v[10:11], 4, v[12:13]
	v_add_co_u32_e32 v10, vcc, v46, v10
	v_mad_u64_u32 v[12:13], s[0:1], s9, v14, v[9:10]
	v_addc_co_u32_e32 v11, vcc, v47, v11, vcc
	v_mov_b32_e32 v9, v12
	global_store_dwordx4 v[10:11], v[4:7], off
	s_nop 0
	v_lshlrev_b64 v[4:5], 4, v[8:9]
	v_add_co_u32_e32 v4, vcc, v46, v4
	v_addc_co_u32_e32 v5, vcc, v47, v5, vcc
	global_store_dwordx4 v[4:5], v[0:3], off
.LBB0_17:
	s_endpgm
	.section	.rodata,"a",@progbits
	.p2align	6, 0x0
	.amdhsa_kernel fft_rtc_back_len100_factors_2_10_5_wgs_200_tpt_10_dim3_dp_ip_CI_sbcc_twdbase8_3step_dirReg
		.amdhsa_group_segment_fixed_size 0
		.amdhsa_private_segment_fixed_size 0
		.amdhsa_kernarg_size 88
		.amdhsa_user_sgpr_count 6
		.amdhsa_user_sgpr_private_segment_buffer 1
		.amdhsa_user_sgpr_dispatch_ptr 0
		.amdhsa_user_sgpr_queue_ptr 0
		.amdhsa_user_sgpr_kernarg_segment_ptr 1
		.amdhsa_user_sgpr_dispatch_id 0
		.amdhsa_user_sgpr_flat_scratch_init 0
		.amdhsa_user_sgpr_private_segment_size 0
		.amdhsa_uses_dynamic_stack 0
		.amdhsa_system_sgpr_private_segment_wavefront_offset 0
		.amdhsa_system_sgpr_workgroup_id_x 1
		.amdhsa_system_sgpr_workgroup_id_y 0
		.amdhsa_system_sgpr_workgroup_id_z 0
		.amdhsa_system_sgpr_workgroup_info 0
		.amdhsa_system_vgpr_workitem_id 0
		.amdhsa_next_free_vgpr 125
		.amdhsa_next_free_sgpr 30
		.amdhsa_reserve_vcc 1
		.amdhsa_reserve_flat_scratch 0
		.amdhsa_float_round_mode_32 0
		.amdhsa_float_round_mode_16_64 0
		.amdhsa_float_denorm_mode_32 3
		.amdhsa_float_denorm_mode_16_64 3
		.amdhsa_dx10_clamp 1
		.amdhsa_ieee_mode 1
		.amdhsa_fp16_overflow 0
		.amdhsa_exception_fp_ieee_invalid_op 0
		.amdhsa_exception_fp_denorm_src 0
		.amdhsa_exception_fp_ieee_div_zero 0
		.amdhsa_exception_fp_ieee_overflow 0
		.amdhsa_exception_fp_ieee_underflow 0
		.amdhsa_exception_fp_ieee_inexact 0
		.amdhsa_exception_int_div_zero 0
	.end_amdhsa_kernel
	.text
.Lfunc_end0:
	.size	fft_rtc_back_len100_factors_2_10_5_wgs_200_tpt_10_dim3_dp_ip_CI_sbcc_twdbase8_3step_dirReg, .Lfunc_end0-fft_rtc_back_len100_factors_2_10_5_wgs_200_tpt_10_dim3_dp_ip_CI_sbcc_twdbase8_3step_dirReg
                                        ; -- End function
	.section	.AMDGPU.csdata,"",@progbits
; Kernel info:
; codeLenInByte = 8184
; NumSgprs: 34
; NumVgprs: 125
; ScratchSize: 0
; MemoryBound: 1
; FloatMode: 240
; IeeeMode: 1
; LDSByteSize: 0 bytes/workgroup (compile time only)
; SGPRBlocks: 4
; VGPRBlocks: 31
; NumSGPRsForWavesPerEU: 34
; NumVGPRsForWavesPerEU: 125
; Occupancy: 2
; WaveLimiterHint : 1
; COMPUTE_PGM_RSRC2:SCRATCH_EN: 0
; COMPUTE_PGM_RSRC2:USER_SGPR: 6
; COMPUTE_PGM_RSRC2:TRAP_HANDLER: 0
; COMPUTE_PGM_RSRC2:TGID_X_EN: 1
; COMPUTE_PGM_RSRC2:TGID_Y_EN: 0
; COMPUTE_PGM_RSRC2:TGID_Z_EN: 0
; COMPUTE_PGM_RSRC2:TIDIG_COMP_CNT: 0
	.type	__hip_cuid_f01888726846f091,@object ; @__hip_cuid_f01888726846f091
	.section	.bss,"aw",@nobits
	.globl	__hip_cuid_f01888726846f091
__hip_cuid_f01888726846f091:
	.byte	0                               ; 0x0
	.size	__hip_cuid_f01888726846f091, 1

	.ident	"AMD clang version 19.0.0git (https://github.com/RadeonOpenCompute/llvm-project roc-6.4.0 25133 c7fe45cf4b819c5991fe208aaa96edf142730f1d)"
	.section	".note.GNU-stack","",@progbits
	.addrsig
	.addrsig_sym __hip_cuid_f01888726846f091
	.amdgpu_metadata
---
amdhsa.kernels:
  - .args:
      - .actual_access:  read_only
        .address_space:  global
        .offset:         0
        .size:           8
        .value_kind:     global_buffer
      - .address_space:  global
        .offset:         8
        .size:           8
        .value_kind:     global_buffer
      - .actual_access:  read_only
        .address_space:  global
        .offset:         16
        .size:           8
        .value_kind:     global_buffer
      - .actual_access:  read_only
        .address_space:  global
        .offset:         24
        .size:           8
        .value_kind:     global_buffer
      - .offset:         32
        .size:           8
        .value_kind:     by_value
      - .actual_access:  read_only
        .address_space:  global
        .offset:         40
        .size:           8
        .value_kind:     global_buffer
      - .actual_access:  read_only
        .address_space:  global
        .offset:         48
        .size:           8
        .value_kind:     global_buffer
      - .offset:         56
        .size:           4
        .value_kind:     by_value
      - .actual_access:  read_only
        .address_space:  global
        .offset:         64
        .size:           8
        .value_kind:     global_buffer
      - .actual_access:  read_only
        .address_space:  global
        .offset:         72
        .size:           8
        .value_kind:     global_buffer
      - .address_space:  global
        .offset:         80
        .size:           8
        .value_kind:     global_buffer
    .group_segment_fixed_size: 0
    .kernarg_segment_align: 8
    .kernarg_segment_size: 88
    .language:       OpenCL C
    .language_version:
      - 2
      - 0
    .max_flat_workgroup_size: 200
    .name:           fft_rtc_back_len100_factors_2_10_5_wgs_200_tpt_10_dim3_dp_ip_CI_sbcc_twdbase8_3step_dirReg
    .private_segment_fixed_size: 0
    .sgpr_count:     34
    .sgpr_spill_count: 0
    .symbol:         fft_rtc_back_len100_factors_2_10_5_wgs_200_tpt_10_dim3_dp_ip_CI_sbcc_twdbase8_3step_dirReg.kd
    .uniform_work_group_size: 1
    .uses_dynamic_stack: false
    .vgpr_count:     125
    .vgpr_spill_count: 0
    .wavefront_size: 64
amdhsa.target:   amdgcn-amd-amdhsa--gfx906
amdhsa.version:
  - 1
  - 2
...

	.end_amdgpu_metadata
